;; amdgpu-corpus repo=ROCm/rocFFT kind=compiled arch=gfx906 opt=O3
	.text
	.amdgcn_target "amdgcn-amd-amdhsa--gfx906"
	.amdhsa_code_object_version 6
	.protected	fft_rtc_fwd_len224_factors_7_2_2_2_2_2_wgs_64_tpt_16_halfLds_sp_ip_CI_unitstride_sbrr_R2C_dirReg ; -- Begin function fft_rtc_fwd_len224_factors_7_2_2_2_2_2_wgs_64_tpt_16_halfLds_sp_ip_CI_unitstride_sbrr_R2C_dirReg
	.globl	fft_rtc_fwd_len224_factors_7_2_2_2_2_2_wgs_64_tpt_16_halfLds_sp_ip_CI_unitstride_sbrr_R2C_dirReg
	.p2align	8
	.type	fft_rtc_fwd_len224_factors_7_2_2_2_2_2_wgs_64_tpt_16_halfLds_sp_ip_CI_unitstride_sbrr_R2C_dirReg,@function
fft_rtc_fwd_len224_factors_7_2_2_2_2_2_wgs_64_tpt_16_halfLds_sp_ip_CI_unitstride_sbrr_R2C_dirReg: ; @fft_rtc_fwd_len224_factors_7_2_2_2_2_2_wgs_64_tpt_16_halfLds_sp_ip_CI_unitstride_sbrr_R2C_dirReg
; %bb.0:
	s_load_dwordx2 s[2:3], s[4:5], 0x50
	s_load_dwordx4 s[8:11], s[4:5], 0x0
	s_load_dwordx2 s[12:13], s[4:5], 0x18
	v_lshrrev_b32_e32 v16, 4, v0
	v_mov_b32_e32 v3, 0
	v_mov_b32_e32 v1, 0
	s_waitcnt lgkmcnt(0)
	v_cmp_lt_u64_e64 s[0:1], s[10:11], 2
	v_lshl_or_b32 v5, s6, 2, v16
	v_mov_b32_e32 v6, v3
	s_and_b64 vcc, exec, s[0:1]
	v_mov_b32_e32 v2, 0
	s_cbranch_vccnz .LBB0_8
; %bb.1:
	s_load_dwordx2 s[0:1], s[4:5], 0x10
	s_add_u32 s6, s12, 8
	s_addc_u32 s7, s13, 0
	v_mov_b32_e32 v1, 0
	v_mov_b32_e32 v2, 0
	s_waitcnt lgkmcnt(0)
	s_add_u32 s14, s0, 8
	s_addc_u32 s15, s1, 0
	s_mov_b64 s[16:17], 1
.LBB0_2:                                ; =>This Inner Loop Header: Depth=1
	s_load_dwordx2 s[18:19], s[14:15], 0x0
                                        ; implicit-def: $vgpr7_vgpr8
	s_waitcnt lgkmcnt(0)
	v_or_b32_e32 v4, s19, v6
	v_cmp_ne_u64_e32 vcc, 0, v[3:4]
	s_and_saveexec_b64 s[0:1], vcc
	s_xor_b64 s[20:21], exec, s[0:1]
	s_cbranch_execz .LBB0_4
; %bb.3:                                ;   in Loop: Header=BB0_2 Depth=1
	v_cvt_f32_u32_e32 v4, s18
	v_cvt_f32_u32_e32 v7, s19
	s_sub_u32 s0, 0, s18
	s_subb_u32 s1, 0, s19
	v_mac_f32_e32 v4, 0x4f800000, v7
	v_rcp_f32_e32 v4, v4
	v_mul_f32_e32 v4, 0x5f7ffffc, v4
	v_mul_f32_e32 v7, 0x2f800000, v4
	v_trunc_f32_e32 v7, v7
	v_mac_f32_e32 v4, 0xcf800000, v7
	v_cvt_u32_f32_e32 v7, v7
	v_cvt_u32_f32_e32 v4, v4
	v_mul_lo_u32 v8, s0, v7
	v_mul_hi_u32 v9, s0, v4
	v_mul_lo_u32 v11, s1, v4
	v_mul_lo_u32 v10, s0, v4
	v_add_u32_e32 v8, v9, v8
	v_add_u32_e32 v8, v8, v11
	v_mul_hi_u32 v9, v4, v10
	v_mul_lo_u32 v11, v4, v8
	v_mul_hi_u32 v13, v4, v8
	v_mul_hi_u32 v12, v7, v10
	v_mul_lo_u32 v10, v7, v10
	v_mul_hi_u32 v14, v7, v8
	v_add_co_u32_e32 v9, vcc, v9, v11
	v_addc_co_u32_e32 v11, vcc, 0, v13, vcc
	v_mul_lo_u32 v8, v7, v8
	v_add_co_u32_e32 v9, vcc, v9, v10
	v_addc_co_u32_e32 v9, vcc, v11, v12, vcc
	v_addc_co_u32_e32 v10, vcc, 0, v14, vcc
	v_add_co_u32_e32 v8, vcc, v9, v8
	v_addc_co_u32_e32 v9, vcc, 0, v10, vcc
	v_add_co_u32_e32 v4, vcc, v4, v8
	v_addc_co_u32_e32 v7, vcc, v7, v9, vcc
	v_mul_lo_u32 v8, s0, v7
	v_mul_hi_u32 v9, s0, v4
	v_mul_lo_u32 v10, s1, v4
	v_mul_lo_u32 v11, s0, v4
	v_add_u32_e32 v8, v9, v8
	v_add_u32_e32 v8, v8, v10
	v_mul_lo_u32 v12, v4, v8
	v_mul_hi_u32 v13, v4, v11
	v_mul_hi_u32 v14, v4, v8
	;; [unrolled: 1-line block ×3, first 2 shown]
	v_mul_lo_u32 v11, v7, v11
	v_mul_hi_u32 v9, v7, v8
	v_add_co_u32_e32 v12, vcc, v13, v12
	v_addc_co_u32_e32 v13, vcc, 0, v14, vcc
	v_mul_lo_u32 v8, v7, v8
	v_add_co_u32_e32 v11, vcc, v12, v11
	v_addc_co_u32_e32 v10, vcc, v13, v10, vcc
	v_addc_co_u32_e32 v9, vcc, 0, v9, vcc
	v_add_co_u32_e32 v8, vcc, v10, v8
	v_addc_co_u32_e32 v9, vcc, 0, v9, vcc
	v_add_co_u32_e32 v4, vcc, v4, v8
	v_addc_co_u32_e32 v9, vcc, v7, v9, vcc
	v_mad_u64_u32 v[7:8], s[0:1], v5, v9, 0
	v_mul_hi_u32 v10, v5, v4
	v_add_co_u32_e32 v11, vcc, v10, v7
	v_addc_co_u32_e32 v12, vcc, 0, v8, vcc
	v_mad_u64_u32 v[7:8], s[0:1], v6, v4, 0
	v_mad_u64_u32 v[9:10], s[0:1], v6, v9, 0
	v_add_co_u32_e32 v4, vcc, v11, v7
	v_addc_co_u32_e32 v4, vcc, v12, v8, vcc
	v_addc_co_u32_e32 v7, vcc, 0, v10, vcc
	v_add_co_u32_e32 v4, vcc, v4, v9
	v_addc_co_u32_e32 v9, vcc, 0, v7, vcc
	v_mul_lo_u32 v10, s19, v4
	v_mul_lo_u32 v11, s18, v9
	v_mad_u64_u32 v[7:8], s[0:1], s18, v4, 0
	v_add3_u32 v8, v8, v11, v10
	v_sub_u32_e32 v10, v6, v8
	v_mov_b32_e32 v11, s19
	v_sub_co_u32_e32 v7, vcc, v5, v7
	v_subb_co_u32_e64 v10, s[0:1], v10, v11, vcc
	v_subrev_co_u32_e64 v11, s[0:1], s18, v7
	v_subbrev_co_u32_e64 v10, s[0:1], 0, v10, s[0:1]
	v_cmp_le_u32_e64 s[0:1], s19, v10
	v_cndmask_b32_e64 v12, 0, -1, s[0:1]
	v_cmp_le_u32_e64 s[0:1], s18, v11
	v_cndmask_b32_e64 v11, 0, -1, s[0:1]
	v_cmp_eq_u32_e64 s[0:1], s19, v10
	v_cndmask_b32_e64 v10, v12, v11, s[0:1]
	v_add_co_u32_e64 v11, s[0:1], 2, v4
	v_addc_co_u32_e64 v12, s[0:1], 0, v9, s[0:1]
	v_add_co_u32_e64 v13, s[0:1], 1, v4
	v_addc_co_u32_e64 v14, s[0:1], 0, v9, s[0:1]
	v_subb_co_u32_e32 v8, vcc, v6, v8, vcc
	v_cmp_ne_u32_e64 s[0:1], 0, v10
	v_cmp_le_u32_e32 vcc, s19, v8
	v_cndmask_b32_e64 v10, v14, v12, s[0:1]
	v_cndmask_b32_e64 v12, 0, -1, vcc
	v_cmp_le_u32_e32 vcc, s18, v7
	v_cndmask_b32_e64 v7, 0, -1, vcc
	v_cmp_eq_u32_e32 vcc, s19, v8
	v_cndmask_b32_e32 v7, v12, v7, vcc
	v_cmp_ne_u32_e32 vcc, 0, v7
	v_cndmask_b32_e64 v7, v13, v11, s[0:1]
	v_cndmask_b32_e32 v8, v9, v10, vcc
	v_cndmask_b32_e32 v7, v4, v7, vcc
.LBB0_4:                                ;   in Loop: Header=BB0_2 Depth=1
	s_andn2_saveexec_b64 s[0:1], s[20:21]
	s_cbranch_execz .LBB0_6
; %bb.5:                                ;   in Loop: Header=BB0_2 Depth=1
	v_cvt_f32_u32_e32 v4, s18
	s_sub_i32 s20, 0, s18
	v_rcp_iflag_f32_e32 v4, v4
	v_mul_f32_e32 v4, 0x4f7ffffe, v4
	v_cvt_u32_f32_e32 v4, v4
	v_mul_lo_u32 v7, s20, v4
	v_mul_hi_u32 v7, v4, v7
	v_add_u32_e32 v4, v4, v7
	v_mul_hi_u32 v4, v5, v4
	v_mul_lo_u32 v7, v4, s18
	v_add_u32_e32 v8, 1, v4
	v_sub_u32_e32 v7, v5, v7
	v_subrev_u32_e32 v9, s18, v7
	v_cmp_le_u32_e32 vcc, s18, v7
	v_cndmask_b32_e32 v7, v7, v9, vcc
	v_cndmask_b32_e32 v4, v4, v8, vcc
	v_add_u32_e32 v8, 1, v4
	v_cmp_le_u32_e32 vcc, s18, v7
	v_cndmask_b32_e32 v7, v4, v8, vcc
	v_mov_b32_e32 v8, v3
.LBB0_6:                                ;   in Loop: Header=BB0_2 Depth=1
	s_or_b64 exec, exec, s[0:1]
	v_mul_lo_u32 v4, v8, s18
	v_mul_lo_u32 v11, v7, s19
	v_mad_u64_u32 v[9:10], s[0:1], v7, s18, 0
	s_load_dwordx2 s[0:1], s[6:7], 0x0
	s_add_u32 s16, s16, 1
	v_add3_u32 v4, v10, v11, v4
	v_sub_co_u32_e32 v5, vcc, v5, v9
	v_subb_co_u32_e32 v4, vcc, v6, v4, vcc
	s_waitcnt lgkmcnt(0)
	v_mul_lo_u32 v4, s0, v4
	v_mul_lo_u32 v6, s1, v5
	v_mad_u64_u32 v[1:2], s[0:1], s0, v5, v[1:2]
	s_addc_u32 s17, s17, 0
	s_add_u32 s6, s6, 8
	v_add3_u32 v2, v6, v2, v4
	v_mov_b32_e32 v4, s10
	v_mov_b32_e32 v5, s11
	s_addc_u32 s7, s7, 0
	v_cmp_ge_u64_e32 vcc, s[16:17], v[4:5]
	s_add_u32 s14, s14, 8
	s_addc_u32 s15, s15, 0
	s_cbranch_vccnz .LBB0_9
; %bb.7:                                ;   in Loop: Header=BB0_2 Depth=1
	v_mov_b32_e32 v5, v7
	v_mov_b32_e32 v6, v8
	s_branch .LBB0_2
.LBB0_8:
	v_mov_b32_e32 v8, v6
	v_mov_b32_e32 v7, v5
.LBB0_9:
	s_lshl_b64 s[0:1], s[10:11], 3
	s_add_u32 s0, s12, s0
	s_addc_u32 s1, s13, s1
	s_load_dwordx2 s[6:7], s[0:1], 0x0
	s_load_dwordx2 s[10:11], s[4:5], 0x20
	v_and_b32_e32 v0, 15, v0
	v_or_b32_e32 v14, 32, v0
	v_or_b32_e32 v6, 64, v0
	s_waitcnt lgkmcnt(0)
	v_mul_lo_u32 v4, s6, v8
	v_mul_lo_u32 v5, s7, v7
	v_mad_u64_u32 v[2:3], s[0:1], s6, v7, v[1:2]
	v_cmp_gt_u64_e32 vcc, s[10:11], v[7:8]
	v_cmp_le_u64_e64 s[0:1], s[10:11], v[7:8]
	v_add3_u32 v3, v5, v3, v4
	v_or_b32_e32 v4, 16, v0
	v_or_b32_e32 v8, 48, v0
                                        ; implicit-def: $vgpr12
                                        ; implicit-def: $vgpr10
	s_and_saveexec_b64 s[4:5], s[0:1]
	s_xor_b64 s[0:1], exec, s[4:5]
	s_cbranch_execz .LBB0_11
; %bb.10:
	v_mov_b32_e32 v1, 0
	v_or_b32_e32 v4, 16, v0
	v_or_b32_e32 v14, 32, v0
	;; [unrolled: 1-line block ×6, first 2 shown]
	v_mov_b32_e32 v5, v1
	v_mov_b32_e32 v15, v1
	;; [unrolled: 1-line block ×6, first 2 shown]
.LBB0_11:
	s_or_saveexec_b64 s[4:5], s[0:1]
	v_mul_u32_u24_e32 v16, 0xe1, v16
	v_lshlrev_b64 v[2:3], 3, v[2:3]
	v_lshlrev_b32_e32 v27, 3, v0
	v_lshlrev_b32_e32 v24, 3, v16
	s_xor_b64 exec, exec, s[4:5]
	s_cbranch_execz .LBB0_13
; %bb.12:
	v_mov_b32_e32 v1, s3
	v_add_co_u32_e64 v5, s[0:1], s2, v2
	v_addc_co_u32_e64 v1, s[0:1], v1, v3, s[0:1]
	v_add_co_u32_e64 v9, s[0:1], v5, v27
	v_addc_co_u32_e64 v10, s[0:1], 0, v1, s[0:1]
	global_load_dwordx2 v[16:17], v[9:10], off
	global_load_dwordx2 v[18:19], v[9:10], off offset:128
	global_load_dwordx2 v[20:21], v[9:10], off offset:256
	;; [unrolled: 1-line block ×13, first 2 shown]
	v_add3_u32 v11, 0, v24, v27
	v_mov_b32_e32 v1, 0
	v_or_b32_e32 v12, 0x50, v0
	v_or_b32_e32 v10, 0x60, v0
	v_mov_b32_e32 v5, v1
	v_mov_b32_e32 v15, v1
	;; [unrolled: 1-line block ×5, first 2 shown]
	s_waitcnt vmcnt(12)
	ds_write2_b64 v11, v[16:17], v[18:19] offset1:16
	s_waitcnt vmcnt(10)
	ds_write2_b64 v11, v[20:21], v[22:23] offset0:32 offset1:48
	s_waitcnt vmcnt(8)
	ds_write2_b64 v11, v[25:26], v[28:29] offset0:64 offset1:80
	;; [unrolled: 2-line block ×6, first 2 shown]
	v_mov_b32_e32 v11, v1
.LBB0_13:
	s_or_b64 exec, exec, s[4:5]
	v_add3_u32 v29, 0, v27, v24
	s_waitcnt lgkmcnt(0)
	; wave barrier
	s_waitcnt lgkmcnt(0)
	ds_read2_b64 v[16:19], v29 offset0:48 offset1:64
	ds_read2_b64 v[20:23], v29 offset0:144 offset1:160
	ds_read_b64 v[33:34], v29 offset:1664
	v_add_u32_e32 v28, 0, v24
	v_add_u32_e32 v26, v28, v27
	ds_read_b64 v[35:36], v26
	s_waitcnt lgkmcnt(2)
	v_add_f32_e32 v25, v18, v22
	s_waitcnt lgkmcnt(1)
	v_add_f32_e32 v38, v16, v33
	v_sub_f32_e32 v40, v16, v33
	ds_read2_b64 v[30:33], v29 offset0:112 offset1:128
	v_add_f32_e32 v37, v19, v23
	v_add_f32_e32 v39, v17, v34
	v_sub_f32_e32 v34, v17, v34
	v_sub_f32_e32 v41, v18, v22
	;; [unrolled: 1-line block ×3, first 2 shown]
	ds_read2_b64 v[16:19], v29 offset0:80 offset1:96
	s_waitcnt lgkmcnt(1)
	v_add_f32_e32 v43, v30, v20
	v_add_f32_e32 v44, v31, v21
	v_sub_f32_e32 v45, v20, v30
	v_sub_f32_e32 v46, v21, v31
	ds_read2_b64 v[20:23], v29 offset0:176 offset1:192
	s_waitcnt lgkmcnt(1)
	v_add_f32_e32 v47, v18, v32
	v_add_f32_e32 v48, v19, v33
	v_sub_f32_e32 v49, v32, v18
	v_sub_f32_e32 v50, v33, v19
	ds_read2_b64 v[30:33], v29 offset0:16 offset1:32
	s_waitcnt lgkmcnt(1)
	v_add_f32_e32 v51, v16, v20
	v_add_f32_e32 v52, v17, v21
	v_sub_f32_e32 v53, v16, v20
	v_add_f32_e32 v16, v51, v38
	s_waitcnt lgkmcnt(0)
	v_add_f32_e32 v20, v32, v22
	v_sub_f32_e32 v54, v17, v21
	v_add_f32_e32 v21, v33, v23
	v_sub_f32_e32 v22, v32, v22
	v_add_f32_e32 v32, v43, v16
	v_add_f32_e32 v16, v52, v39
	;; [unrolled: 1-line block ×3, first 2 shown]
	v_sub_f32_e32 v23, v33, v23
	v_add_f32_e32 v33, v44, v16
	v_add_f32_e32 v16, v30, v32
	;; [unrolled: 1-line block ×7, first 2 shown]
	v_sub_f32_e32 v35, v25, v20
	v_sub_f32_e32 v20, v20, v47
	;; [unrolled: 1-line block ×3, first 2 shown]
	v_add_f32_e32 v47, v49, v41
	v_add_f32_e32 v19, v36, v31
	v_sub_f32_e32 v36, v37, v21
	v_sub_f32_e32 v21, v21, v48
	;; [unrolled: 1-line block ×6, first 2 shown]
	v_add_f32_e32 v22, v47, v22
	v_add_f32_e32 v47, v50, v42
	v_sub_f32_e32 v55, v50, v42
	v_sub_f32_e32 v50, v23, v50
	;; [unrolled: 1-line block ×3, first 2 shown]
	v_add_f32_e32 v23, v47, v23
	v_mov_b32_e32 v47, v18
	v_fmac_f32_e32 v47, 0xbf955555, v30
	v_mov_b32_e32 v30, v19
	v_fmac_f32_e32 v30, 0xbf955555, v31
	v_mul_f32_e32 v20, 0x3f4a47b2, v20
	v_mul_f32_e32 v21, 0x3f4a47b2, v21
	;; [unrolled: 1-line block ×4, first 2 shown]
	s_mov_b32 s0, 0x3f5ff5aa
	s_mov_b32 s1, 0xbf3bfb3b
	v_fma_f32 v55, v35, s1, -v20
	v_fmac_f32_e32 v20, 0x3d64c772, v25
	v_fma_f32 v56, v36, s1, -v21
	v_fmac_f32_e32 v21, 0x3d64c772, v37
	;; [unrolled: 2-line block ×4, first 2 shown]
	v_add_f32_e32 v59, v20, v47
	v_add_f32_e32 v60, v21, v30
	v_fmac_f32_e32 v31, 0x3ee1c552, v22
	v_fmac_f32_e32 v48, 0x3ee1c552, v23
	v_add_f32_e32 v20, v59, v48
	v_sub_f32_e32 v21, v60, v31
	v_mad_u32_u24 v61, v0, 56, v28
	s_waitcnt lgkmcnt(0)
	; wave barrier
	ds_write2_b64 v61, v[18:19], v[20:21] offset1:1
	v_mul_f32_e32 v20, 0x3f5ff5aa, v41
	s_mov_b32 s5, 0xbeae86e6
	v_mul_f32_e32 v18, 0x3d64c772, v25
	s_mov_b32 s4, 0x3f3bfb3b
	v_mul_f32_e32 v19, 0x3d64c772, v37
	v_fma_f32 v25, v49, s5, -v20
	v_mul_f32_e32 v20, 0x3f5ff5aa, v42
	v_fma_f32 v18, v35, s4, -v18
	v_fma_f32 v19, v36, s4, -v19
	;; [unrolled: 1-line block ×3, first 2 shown]
	v_add_f32_e32 v36, v18, v47
	v_add_f32_e32 v37, v55, v47
	;; [unrolled: 1-line block ×4, first 2 shown]
	v_fmac_f32_e32 v57, 0x3ee1c552, v22
	v_fmac_f32_e32 v25, 0x3ee1c552, v22
	;; [unrolled: 1-line block ×4, first 2 shown]
	v_add_f32_e32 v18, v35, v37
	v_sub_f32_e32 v19, v30, v25
	v_sub_f32_e32 v20, v36, v58
	v_add_f32_e32 v21, v57, v41
	ds_write2_b64 v61, v[18:19], v[20:21] offset0:2 offset1:3
	v_add_f32_e32 v18, v58, v36
	v_sub_f32_e32 v19, v41, v57
	v_sub_f32_e32 v20, v37, v35
	v_add_f32_e32 v21, v25, v30
	ds_write2_b64 v61, v[18:19], v[20:21] offset0:4 offset1:5
	v_sub_f32_e32 v18, v59, v48
	v_add_f32_e32 v19, v31, v60
	v_add_f32_e32 v36, v46, v54
	ds_write_b64 v61, v[18:19] offset:48
	v_sub_f32_e32 v20, v51, v38
	v_sub_f32_e32 v18, v38, v43
	;; [unrolled: 1-line block ×6, first 2 shown]
	v_add_f32_e32 v34, v36, v34
	v_mov_b32_e32 v36, v16
	v_sub_f32_e32 v30, v45, v53
	v_sub_f32_e32 v37, v46, v54
	v_fmac_f32_e32 v36, 0xbf955555, v32
	v_mov_b32_e32 v32, v17
	v_sub_f32_e32 v21, v43, v51
	v_sub_f32_e32 v23, v44, v52
	v_add_f32_e32 v25, v45, v53
	v_sub_f32_e32 v31, v40, v45
	v_sub_f32_e32 v35, v53, v40
	v_fmac_f32_e32 v32, 0xbf955555, v33
	v_mul_f32_e32 v18, 0x3f4a47b2, v18
	v_mul_f32_e32 v19, 0x3f4a47b2, v19
	v_mul_f32_e32 v33, 0xbf08b237, v30
	v_mul_f32_e32 v30, 0xbf08b237, v37
	v_add_f32_e32 v25, v25, v40
	v_fma_f32 v37, v20, s1, -v18
	v_fmac_f32_e32 v18, 0x3d64c772, v21
	v_fma_f32 v40, v22, s1, -v19
	v_fmac_f32_e32 v19, 0x3d64c772, v23
	;; [unrolled: 2-line block ×4, first 2 shown]
	v_add_f32_e32 v43, v18, v36
	v_add_f32_e32 v44, v19, v32
	v_fmac_f32_e32 v33, 0x3ee1c552, v25
	v_fmac_f32_e32 v30, 0x3ee1c552, v34
	v_add_f32_e32 v18, v43, v30
	v_sub_f32_e32 v19, v44, v33
	v_mad_i32_i24 v45, v4, 56, v28
	ds_write2_b64 v45, v[16:17], v[18:19] offset1:1
	v_mul_f32_e32 v16, 0x3d64c772, v21
	v_fma_f32 v16, v20, s4, -v16
	v_mul_f32_e32 v20, 0x3f5ff5aa, v35
	v_mul_f32_e32 v17, 0x3d64c772, v23
	v_fma_f32 v23, v31, s5, -v20
	v_mul_f32_e32 v20, 0x3f5ff5aa, v39
	v_fma_f32 v17, v22, s4, -v17
	v_fma_f32 v22, v38, s5, -v20
	v_add_f32_e32 v18, v16, v36
	v_add_f32_e32 v19, v17, v32
	v_fmac_f32_e32 v41, 0x3ee1c552, v25
	v_fmac_f32_e32 v42, 0x3ee1c552, v34
	v_add_f32_e32 v31, v37, v36
	v_add_f32_e32 v32, v40, v32
	v_fmac_f32_e32 v23, 0x3ee1c552, v25
	v_fmac_f32_e32 v22, 0x3ee1c552, v34
	v_sub_f32_e32 v16, v18, v42
	v_add_f32_e32 v17, v41, v19
	v_add_f32_e32 v20, v22, v31
	v_sub_f32_e32 v21, v32, v23
	v_add_f32_e32 v18, v42, v18
	v_sub_f32_e32 v19, v19, v41
	v_sub_f32_e32 v22, v31, v22
	v_add_f32_e32 v23, v23, v32
	v_sub_f32_e32 v30, v43, v30
	v_add_f32_e32 v31, v33, v44
	ds_write2_b64 v45, v[20:21], v[16:17] offset0:2 offset1:3
	ds_write2_b64 v45, v[18:19], v[22:23] offset0:4 offset1:5
	ds_write_b64 v45, v[30:31] offset:48
	v_mul_lo_u16_e32 v16, 37, v0
	v_lshrrev_b16_e32 v23, 8, v16
	v_mul_lo_u16_e32 v16, 7, v23
	v_sub_u16_e32 v16, v0, v16
	v_mov_b32_e32 v22, 3
	v_mov_b32_e32 v44, 37
	v_lshlrev_b32_sdwa v25, v22, v16 dst_sel:DWORD dst_unused:UNUSED_PAD src0_sel:DWORD src1_sel:BYTE_0
	v_mul_lo_u16_sdwa v16, v4, v44 dst_sel:DWORD dst_unused:UNUSED_PAD src0_sel:BYTE_0 src1_sel:DWORD
	v_sub_u16_sdwa v17, v4, v16 dst_sel:DWORD dst_unused:UNUSED_PAD src0_sel:DWORD src1_sel:BYTE_1
	v_lshrrev_b16_e32 v17, 1, v17
	v_and_b32_e32 v17, 0x7f, v17
	v_add_u16_sdwa v16, v17, v16 dst_sel:DWORD dst_unused:UNUSED_PAD src0_sel:DWORD src1_sel:BYTE_1
	v_lshrrev_b16_e32 v50, 2, v16
	v_mul_lo_u16_e32 v16, 7, v50
	v_sub_u16_e32 v16, v4, v16
	s_waitcnt lgkmcnt(0)
	; wave barrier
	s_waitcnt lgkmcnt(0)
	v_lshlrev_b32_sdwa v51, v22, v16 dst_sel:DWORD dst_unused:UNUSED_PAD src0_sel:DWORD src1_sel:BYTE_0
	global_load_dwordx2 v[20:21], v25, s[8:9]
	global_load_dwordx2 v[34:35], v51, s[8:9]
	v_mul_lo_u16_sdwa v16, v14, v44 dst_sel:DWORD dst_unused:UNUSED_PAD src0_sel:BYTE_0 src1_sel:DWORD
	v_sub_u16_sdwa v17, v14, v16 dst_sel:DWORD dst_unused:UNUSED_PAD src0_sel:DWORD src1_sel:BYTE_1
	v_lshrrev_b16_e32 v17, 1, v17
	v_and_b32_e32 v17, 0x7f, v17
	v_add_u16_sdwa v16, v17, v16 dst_sel:DWORD dst_unused:UNUSED_PAD src0_sel:DWORD src1_sel:BYTE_1
	v_lshrrev_b16_e32 v52, 2, v16
	v_mul_lo_u16_e32 v16, 7, v52
	v_sub_u16_e32 v16, v14, v16
	v_lshlrev_b32_sdwa v53, v22, v16 dst_sel:DWORD dst_unused:UNUSED_PAD src0_sel:DWORD src1_sel:BYTE_0
	v_mul_lo_u16_sdwa v16, v8, v44 dst_sel:DWORD dst_unused:UNUSED_PAD src0_sel:BYTE_0 src1_sel:DWORD
	v_sub_u16_sdwa v17, v8, v16 dst_sel:DWORD dst_unused:UNUSED_PAD src0_sel:DWORD src1_sel:BYTE_1
	v_lshrrev_b16_e32 v17, 1, v17
	v_and_b32_e32 v17, 0x7f, v17
	v_add_u16_sdwa v16, v17, v16 dst_sel:DWORD dst_unused:UNUSED_PAD src0_sel:DWORD src1_sel:BYTE_1
	v_lshrrev_b16_e32 v54, 2, v16
	v_mul_lo_u16_e32 v16, 7, v54
	v_sub_u16_e32 v16, v8, v16
	v_lshlrev_b32_sdwa v55, v22, v16 dst_sel:DWORD dst_unused:UNUSED_PAD src0_sel:DWORD src1_sel:BYTE_0
	v_mul_lo_u16_sdwa v16, v6, v44 dst_sel:DWORD dst_unused:UNUSED_PAD src0_sel:BYTE_0 src1_sel:DWORD
	v_sub_u16_sdwa v17, v6, v16 dst_sel:DWORD dst_unused:UNUSED_PAD src0_sel:DWORD src1_sel:BYTE_1
	v_lshrrev_b16_e32 v17, 1, v17
	v_and_b32_e32 v17, 0x7f, v17
	v_add_u16_sdwa v16, v17, v16 dst_sel:DWORD dst_unused:UNUSED_PAD src0_sel:DWORD src1_sel:BYTE_1
	v_mul_lo_u16_sdwa v17, v12, v44 dst_sel:DWORD dst_unused:UNUSED_PAD src0_sel:BYTE_0 src1_sel:DWORD
	v_sub_u16_sdwa v18, v12, v17 dst_sel:DWORD dst_unused:UNUSED_PAD src0_sel:DWORD src1_sel:BYTE_1
	v_lshrrev_b16_e32 v18, 1, v18
	global_load_dwordx2 v[36:37], v53, s[8:9]
	global_load_dwordx2 v[38:39], v55, s[8:9]
	v_and_b32_e32 v18, 0x7f, v18
	v_lshrrev_b16_e32 v56, 2, v16
	v_add_u16_sdwa v17, v18, v17 dst_sel:DWORD dst_unused:UNUSED_PAD src0_sel:DWORD src1_sel:BYTE_1
	v_mul_lo_u16_e32 v16, 7, v56
	v_sub_u16_e32 v16, v6, v16
	v_lshrrev_b16_e32 v58, 2, v17
	v_lshlrev_b32_sdwa v57, v22, v16 dst_sel:DWORD dst_unused:UNUSED_PAD src0_sel:DWORD src1_sel:BYTE_0
	v_mul_lo_u16_e32 v16, 7, v58
	v_sub_u16_e32 v16, v12, v16
	global_load_dwordx2 v[40:41], v57, s[8:9]
	v_lshlrev_b32_sdwa v59, v22, v16 dst_sel:DWORD dst_unused:UNUSED_PAD src0_sel:DWORD src1_sel:BYTE_0
	global_load_dwordx2 v[42:43], v59, s[8:9]
	ds_read2_b64 v[16:19], v29 offset0:112 offset1:128
	s_movk_i32 s0, 0xffd0
	s_waitcnt vmcnt(5) lgkmcnt(0)
	v_mul_f32_e32 v30, v21, v17
	v_fma_f32 v46, v20, v16, -v30
	v_mul_f32_e32 v47, v21, v16
	s_waitcnt vmcnt(4)
	v_mul_f32_e32 v16, v35, v19
	v_fma_f32 v60, v34, v18, -v16
	v_mul_lo_u16_sdwa v16, v10, v44 dst_sel:DWORD dst_unused:UNUSED_PAD src0_sel:BYTE_0 src1_sel:DWORD
	v_fmac_f32_e32 v47, v20, v17
	v_sub_u16_sdwa v17, v10, v16 dst_sel:DWORD dst_unused:UNUSED_PAD src0_sel:DWORD src1_sel:BYTE_1
	v_lshrrev_b16_e32 v17, 1, v17
	v_and_b32_e32 v17, 0x7f, v17
	v_add_u16_sdwa v16, v17, v16 dst_sel:DWORD dst_unused:UNUSED_PAD src0_sel:DWORD src1_sel:BYTE_1
	v_lshrrev_b16_e32 v61, 2, v16
	v_mul_lo_u16_e32 v16, 7, v61
	v_sub_u16_e32 v16, v10, v16
	v_lshlrev_b32_sdwa v62, v22, v16 dst_sel:DWORD dst_unused:UNUSED_PAD src0_sel:DWORD src1_sel:BYTE_0
	global_load_dwordx2 v[20:21], v62, s[8:9]
	ds_read2_b64 v[30:33], v29 offset0:144 offset1:160
	v_mul_f32_e32 v63, v35, v18
	v_fmac_f32_e32 v63, v34, v19
	v_lshl_add_u32 v34, v14, 3, v28
	v_mad_i32_i24 v35, v4, s0, v45
	s_movk_i32 s0, 0x70
	v_mad_u32_u24 v23, v23, s0, 0
	v_add3_u32 v23, v23, v25, v24
	s_waitcnt vmcnt(4) lgkmcnt(0)
	v_mul_f32_e32 v16, v37, v31
	v_fma_f32 v64, v36, v30, -v16
	ds_read2_b64 v[16:19], v29 offset0:176 offset1:192
	v_mul_f32_e32 v65, v37, v30
	s_waitcnt vmcnt(3)
	v_mul_f32_e32 v30, v39, v33
	v_fma_f32 v66, v38, v32, -v30
	v_mul_f32_e32 v67, v39, v32
	v_fmac_f32_e32 v65, v36, v31
	v_fmac_f32_e32 v67, v38, v33
	v_lshl_add_u32 v33, v8, 3, v28
	v_lshl_add_u32 v32, v6, 3, v28
	s_waitcnt vmcnt(2) lgkmcnt(0)
	v_mul_f32_e32 v30, v17, v41
	v_fma_f32 v68, v16, v40, -v30
	v_mul_f32_e32 v69, v16, v41
	s_waitcnt vmcnt(1)
	v_mul_f32_e32 v16, v19, v43
	v_fmac_f32_e32 v69, v17, v40
	v_fma_f32 v70, v18, v42, -v16
	ds_read_b64 v[16:17], v26
	v_mul_f32_e32 v71, v18, v43
	v_fmac_f32_e32 v71, v19, v42
	ds_read_b64 v[18:19], v29 offset:1664
	ds_read_b64 v[36:37], v34
	ds_read_b64 v[38:39], v35
	v_lshl_add_u32 v31, v12, 3, v28
	s_waitcnt lgkmcnt(3)
	v_sub_f32_e32 v40, v16, v46
	v_sub_f32_e32 v41, v17, v47
	v_fma_f32 v16, v16, 2.0, -v40
	v_fma_f32 v17, v17, 2.0, -v41
	v_lshl_add_u32 v30, v10, 3, v28
	ds_read_b64 v[42:43], v33
	ds_read_b64 v[44:45], v32
	ds_read_b64 v[46:47], v31
	ds_read_b64 v[48:49], v30
	s_waitcnt lgkmcnt(0)
	; wave barrier
	s_waitcnt lgkmcnt(0)
	ds_write2_b64 v23, v[16:17], v[40:41] offset1:7
	v_sub_f32_e32 v16, v38, v60
	v_sub_f32_e32 v17, v39, v63
	v_mad_u32_u24 v23, v50, s0, 0
	v_fma_f32 v38, v38, 2.0, -v16
	v_fma_f32 v39, v39, 2.0, -v17
	v_add3_u32 v23, v23, v51, v24
	ds_write2_b64 v23, v[38:39], v[16:17] offset1:7
	v_sub_f32_e32 v16, v36, v64
	v_sub_f32_e32 v17, v37, v65
	v_mad_u32_u24 v23, v52, s0, 0
	v_fma_f32 v36, v36, 2.0, -v16
	v_fma_f32 v37, v37, 2.0, -v17
	v_add3_u32 v23, v23, v53, v24
	;; [unrolled: 7-line block ×5, first 2 shown]
	ds_write2_b64 v23, v[36:37], v[16:17] offset1:7
	v_mov_b32_e32 v36, s9
	v_mov_b32_e32 v23, 1
	s_waitcnt vmcnt(0)
	v_mul_f32_e32 v16, v19, v21
	v_mul_f32_e32 v17, v18, v21
	v_fma_f32 v16, v18, v20, -v16
	v_fmac_f32_e32 v17, v19, v20
	v_sub_f32_e32 v16, v48, v16
	v_sub_f32_e32 v17, v49, v17
	v_mad_u32_u24 v20, v61, s0, 0
	v_fma_f32 v18, v48, 2.0, -v16
	v_fma_f32 v19, v49, 2.0, -v17
	v_add3_u32 v20, v20, v62, v24
	ds_write2_b64 v20, v[18:19], v[16:17] offset1:7
	v_add_u32_e32 v16, -14, v0
	v_cmp_gt_u32_e64 s[0:1], 14, v0
	v_cndmask_b32_e64 v18, v16, v0, s[0:1]
	v_mov_b32_e32 v19, 0
	v_lshlrev_b64 v[16:17], 3, v[18:19]
	s_waitcnt lgkmcnt(0)
	v_add_co_u32_e64 v16, s[0:1], s8, v16
	v_addc_co_u32_e64 v17, s[0:1], v36, v17, s[0:1]
	; wave barrier
	global_load_dwordx2 v[16:17], v[16:17], off offset:56
	v_lshrrev_b16_sdwa v20, v23, v4 dst_sel:DWORD dst_unused:UNUSED_PAD src0_sel:DWORD src1_sel:BYTE_0
	v_mul_lo_u16_e32 v20, 0x93, v20
	v_lshrrev_b16_e32 v25, 10, v20
	v_mul_lo_u16_e32 v20, 14, v25
	v_sub_u16_e32 v20, v4, v20
	v_lshlrev_b32_sdwa v53, v22, v20 dst_sel:DWORD dst_unused:UNUSED_PAD src0_sel:DWORD src1_sel:BYTE_0
	v_lshrrev_b16_sdwa v20, v23, v14 dst_sel:DWORD dst_unused:UNUSED_PAD src0_sel:DWORD src1_sel:BYTE_0
	v_mul_lo_u16_e32 v20, 0x93, v20
	v_lshrrev_b16_e32 v54, 10, v20
	v_mul_lo_u16_e32 v20, 14, v54
	v_sub_u16_e32 v20, v14, v20
	v_lshlrev_b32_sdwa v55, v22, v20 dst_sel:DWORD dst_unused:UNUSED_PAD src0_sel:DWORD src1_sel:BYTE_0
	v_lshrrev_b16_sdwa v20, v23, v8 dst_sel:DWORD dst_unused:UNUSED_PAD src0_sel:DWORD src1_sel:BYTE_0
	v_mul_lo_u16_e32 v20, 0x93, v20
	v_lshrrev_b16_e32 v56, 10, v20
	v_mul_lo_u16_e32 v20, 14, v56
	v_sub_u16_e32 v37, v8, v20
	global_load_dwordx2 v[20:21], v53, s[8:9] offset:56
	v_lshlrev_b32_sdwa v57, v22, v37 dst_sel:DWORD dst_unused:UNUSED_PAD src0_sel:DWORD src1_sel:BYTE_0
	v_lshrrev_b16_sdwa v37, v23, v6 dst_sel:DWORD dst_unused:UNUSED_PAD src0_sel:DWORD src1_sel:BYTE_0
	v_mul_lo_u16_e32 v37, 0x93, v37
	v_lshrrev_b16_e32 v58, 10, v37
	v_mul_lo_u16_e32 v37, 14, v58
	v_sub_u16_e32 v37, v6, v37
	v_lshlrev_b32_sdwa v59, v22, v37 dst_sel:DWORD dst_unused:UNUSED_PAD src0_sel:DWORD src1_sel:BYTE_0
	v_lshrrev_b16_sdwa v37, v23, v12 dst_sel:DWORD dst_unused:UNUSED_PAD src0_sel:DWORD src1_sel:BYTE_0
	v_mul_lo_u16_e32 v37, 0x93, v37
	v_lshrrev_b16_e32 v60, 10, v37
	v_mul_lo_u16_e32 v37, 14, v60
	global_load_dwordx2 v[45:46], v55, s[8:9] offset:56
	global_load_dwordx2 v[47:48], v57, s[8:9] offset:56
	v_sub_u16_e32 v37, v12, v37
	global_load_dwordx2 v[49:50], v59, s[8:9] offset:56
	v_lshlrev_b32_sdwa v61, v22, v37 dst_sel:DWORD dst_unused:UNUSED_PAD src0_sel:DWORD src1_sel:BYTE_0
	global_load_dwordx2 v[51:52], v61, s[8:9] offset:56
	ds_read2_b64 v[37:40], v29 offset0:112 offset1:128
	v_cmp_lt_u32_e64 s[0:1], 13, v0
	v_lshlrev_b32_e32 v18, 3, v18
	v_lshlrev_b64 v[14:15], 3, v[14:15]
	s_waitcnt vmcnt(5) lgkmcnt(0)
	v_mul_f32_e32 v41, v17, v38
	v_mul_f32_e32 v63, v17, v37
	v_fma_f32 v62, v16, v37, -v41
	v_fmac_f32_e32 v63, v16, v38
	v_lshrrev_b16_sdwa v16, v23, v10 dst_sel:DWORD dst_unused:UNUSED_PAD src0_sel:DWORD src1_sel:BYTE_0
	v_mul_lo_u16_e32 v16, 0x93, v16
	v_lshrrev_b16_e32 v23, 10, v16
	v_mul_lo_u16_e32 v16, 14, v23
	v_sub_u16_e32 v16, v10, v16
	v_lshlrev_b32_sdwa v64, v22, v16 dst_sel:DWORD dst_unused:UNUSED_PAD src0_sel:DWORD src1_sel:BYTE_0
	global_load_dwordx2 v[16:17], v64, s[8:9] offset:56
	ds_read2_b64 v[41:44], v29 offset0:144 offset1:160
	s_waitcnt vmcnt(5)
	v_mul_f32_e32 v37, v21, v40
	v_mul_f32_e32 v66, v21, v39
	v_fma_f32 v65, v20, v39, -v37
	v_fmac_f32_e32 v66, v20, v40
	ds_read2_b64 v[37:40], v29 offset0:176 offset1:192
	s_waitcnt vmcnt(4) lgkmcnt(1)
	v_mul_f32_e32 v20, v46, v42
	v_fma_f32 v67, v45, v41, -v20
	s_waitcnt vmcnt(3)
	v_mul_f32_e32 v20, v48, v44
	v_fma_f32 v69, v47, v43, -v20
	s_waitcnt vmcnt(2) lgkmcnt(0)
	v_mul_f32_e32 v20, v50, v38
	v_fma_f32 v71, v49, v37, -v20
	s_waitcnt vmcnt(1)
	v_mul_f32_e32 v20, v40, v52
	v_fma_f32 v73, v39, v51, -v20
	ds_read_b64 v[20:21], v26
	v_mul_f32_e32 v68, v46, v41
	v_mul_f32_e32 v72, v50, v37
	;; [unrolled: 1-line block ×3, first 2 shown]
	v_fmac_f32_e32 v68, v45, v42
	v_fmac_f32_e32 v72, v49, v38
	;; [unrolled: 1-line block ×3, first 2 shown]
	ds_read_b64 v[37:38], v29 offset:1664
	ds_read_b64 v[39:40], v34
	ds_read_b64 v[41:42], v35
	v_mov_b32_e32 v45, 0xe0
	v_mul_f32_e32 v70, v48, v43
	v_cndmask_b32_e64 v45, 0, v45, s[0:1]
	v_fmac_f32_e32 v70, v47, v44
	s_waitcnt lgkmcnt(3)
	v_sub_f32_e32 v43, v20, v62
	v_sub_f32_e32 v44, v21, v63
	v_add_u32_e32 v45, 0, v45
	v_fma_f32 v20, v20, 2.0, -v43
	v_fma_f32 v21, v21, 2.0, -v44
	v_add3_u32 v18, v45, v18, v24
	s_movk_i32 s0, 0xe0
	ds_read_b64 v[45:46], v33
	ds_read_b64 v[47:48], v32
	;; [unrolled: 1-line block ×4, first 2 shown]
	s_waitcnt lgkmcnt(0)
	; wave barrier
	s_waitcnt lgkmcnt(0)
	ds_write2_b64 v18, v[20:21], v[43:44] offset1:14
	v_sub_f32_e32 v20, v41, v65
	v_sub_f32_e32 v21, v42, v66
	v_mad_u32_u24 v18, v25, s0, 0
	v_fma_f32 v41, v41, 2.0, -v20
	v_fma_f32 v42, v42, 2.0, -v21
	v_add3_u32 v18, v18, v53, v24
	ds_write2_b64 v18, v[41:42], v[20:21] offset1:14
	v_sub_f32_e32 v20, v39, v67
	v_sub_f32_e32 v21, v40, v68
	v_mad_u32_u24 v18, v54, s0, 0
	v_fma_f32 v39, v39, 2.0, -v20
	v_fma_f32 v40, v40, 2.0, -v21
	v_add3_u32 v18, v18, v55, v24
	;; [unrolled: 7-line block ×5, first 2 shown]
	ds_write2_b64 v18, v[39:40], v[20:21] offset1:14
	s_waitcnt vmcnt(0)
	v_mul_f32_e32 v18, v38, v17
	v_mul_f32_e32 v17, v37, v17
	v_fma_f32 v18, v37, v16, -v18
	v_fmac_f32_e32 v17, v38, v16
	v_sub_f32_e32 v16, v51, v18
	v_sub_f32_e32 v17, v52, v17
	v_mad_u32_u24 v18, v23, s0, 0
	v_fma_f32 v20, v51, 2.0, -v16
	v_fma_f32 v21, v52, 2.0, -v17
	v_add3_u32 v18, v18, v64, v24
	ds_write2_b64 v18, v[20:21], v[16:17] offset1:14
	v_lshlrev_b64 v[16:17], 3, v[0:1]
	v_add_u32_e32 v1, -12, v0
	v_add_co_u32_e64 v20, s[0:1], s8, v16
	v_addc_co_u32_e64 v21, s[0:1], v36, v17, s[0:1]
	v_cmp_gt_u32_e64 s[0:1], 28, v4
	v_cndmask_b32_e64 v18, v1, v4, s[0:1]
	v_mov_b32_e32 v1, 2
	v_lshrrev_b16_sdwa v23, v1, v8 dst_sel:DWORD dst_unused:UNUSED_PAD src0_sel:DWORD src1_sel:BYTE_0
	s_waitcnt lgkmcnt(0)
	; wave barrier
	s_waitcnt lgkmcnt(0)
	v_lshlrev_b64 v[37:38], 3, v[18:19]
	global_load_dwordx2 v[41:42], v[20:21], off offset:168
	global_load_dwordx2 v[45:46], v[20:21], off offset:200
	v_mul_lo_u16_e32 v23, 37, v23
	v_lshrrev_b16_e32 v25, 8, v23
	v_add_co_u32_e64 v37, s[0:1], s8, v37
	v_mul_lo_u16_e32 v23, 28, v25
	v_addc_co_u32_e64 v38, s[0:1], v36, v38, s[0:1]
	v_sub_u16_e32 v23, v8, v23
	global_load_dwordx2 v[47:48], v[37:38], off offset:168
	v_lshlrev_b32_sdwa v55, v22, v23 dst_sel:DWORD dst_unused:UNUSED_PAD src0_sel:DWORD src1_sel:BYTE_0
	v_lshrrev_b16_sdwa v23, v1, v6 dst_sel:DWORD dst_unused:UNUSED_PAD src0_sel:DWORD src1_sel:BYTE_0
	v_mul_lo_u16_e32 v23, 37, v23
	v_mov_b32_e32 v43, 28
	v_mul_lo_u16_sdwa v23, v23, v43 dst_sel:DWORD dst_unused:UNUSED_PAD src0_sel:BYTE_1 src1_sel:DWORD
	v_sub_u16_e32 v23, v6, v23
	v_lshlrev_b32_sdwa v56, v22, v23 dst_sel:DWORD dst_unused:UNUSED_PAD src0_sel:DWORD src1_sel:BYTE_0
	v_lshrrev_b16_sdwa v23, v1, v12 dst_sel:DWORD dst_unused:UNUSED_PAD src0_sel:DWORD src1_sel:BYTE_0
	v_mul_lo_u16_e32 v23, 37, v23
	global_load_dwordx2 v[49:50], v55, s[8:9] offset:168
	global_load_dwordx2 v[51:52], v56, s[8:9] offset:168
	v_lshrrev_b16_e32 v57, 8, v23
	v_mul_lo_u16_e32 v23, 28, v57
	v_sub_u16_e32 v23, v12, v23
	v_lshlrev_b32_sdwa v58, v22, v23 dst_sel:DWORD dst_unused:UNUSED_PAD src0_sel:DWORD src1_sel:BYTE_0
	global_load_dwordx2 v[53:54], v58, s[8:9] offset:168
	v_lshrrev_b16_sdwa v1, v1, v10 dst_sel:DWORD dst_unused:UNUSED_PAD src0_sel:DWORD src1_sel:BYTE_0
	v_mul_lo_u16_e32 v1, 37, v1
	v_mul_lo_u16_sdwa v1, v1, v43 dst_sel:DWORD dst_unused:UNUSED_PAD src0_sel:BYTE_1 src1_sel:DWORD
	v_sub_u16_e32 v1, v10, v1
	v_lshlrev_b32_sdwa v1, v22, v1 dst_sel:DWORD dst_unused:UNUSED_PAD src0_sel:DWORD src1_sel:BYTE_0
	global_load_dwordx2 v[22:23], v1, s[8:9] offset:168
	ds_read2_b64 v[37:40], v29 offset0:112 offset1:128
	v_cmp_lt_u32_e64 s[0:1], 27, v4
	v_lshlrev_b32_e32 v18, 3, v18
	v_add_u32_e32 v1, v28, v1
	s_waitcnt vmcnt(6) lgkmcnt(0)
	v_mul_f32_e32 v43, v42, v38
	v_mul_f32_e32 v60, v42, v37
	v_fma_f32 v59, v41, v37, -v43
	v_fmac_f32_e32 v60, v41, v38
	ds_read2_b64 v[41:44], v29 offset0:144 offset1:160
	s_waitcnt vmcnt(5) lgkmcnt(0)
	v_mul_f32_e32 v64, v46, v41
	s_waitcnt vmcnt(4)
	v_mul_f32_e32 v37, v48, v40
	v_fma_f32 v61, v47, v39, -v37
	v_mul_f32_e32 v62, v48, v39
	v_mul_f32_e32 v37, v46, v42
	v_fmac_f32_e32 v62, v47, v40
	v_fma_f32 v63, v45, v41, -v37
	ds_read2_b64 v[37:40], v29 offset0:176 offset1:192
	v_fmac_f32_e32 v64, v45, v42
	s_waitcnt vmcnt(3)
	v_mul_f32_e32 v41, v50, v44
	v_fma_f32 v65, v49, v43, -v41
	s_waitcnt vmcnt(2) lgkmcnt(0)
	v_mul_f32_e32 v41, v52, v38
	v_mul_f32_e32 v68, v52, v37
	v_fma_f32 v67, v51, v37, -v41
	v_fmac_f32_e32 v68, v51, v38
	ds_read_b64 v[37:38], v26
	v_mul_f32_e32 v66, v50, v43
	s_waitcnt vmcnt(1)
	v_mul_f32_e32 v41, v40, v54
	v_mul_f32_e32 v70, v39, v54
	v_fmac_f32_e32 v66, v49, v44
	v_fma_f32 v69, v39, v53, -v41
	v_fmac_f32_e32 v70, v40, v53
	ds_read_b64 v[41:42], v33
	ds_read_b64 v[43:44], v32
	;; [unrolled: 1-line block ×6, first 2 shown]
	ds_read_b64 v[53:54], v29 offset:1664
	s_waitcnt lgkmcnt(7)
	v_sub_f32_e32 v39, v37, v59
	v_sub_f32_e32 v40, v38, v60
	v_fma_f32 v37, v37, 2.0, -v39
	v_fma_f32 v38, v38, 2.0, -v40
	s_waitcnt lgkmcnt(0)
	; wave barrier
	s_waitcnt lgkmcnt(0)
	ds_write2_b64 v29, v[37:38], v[39:40] offset1:28
	v_sub_f32_e32 v37, v51, v61
	v_fma_f32 v39, v51, 2.0, -v37
	v_mov_b32_e32 v51, 0x1c0
	v_cndmask_b32_e64 v51, 0, v51, s[0:1]
	v_sub_f32_e32 v38, v52, v62
	v_add_u32_e32 v51, 0, v51
	v_fma_f32 v40, v52, 2.0, -v38
	v_add3_u32 v18, v51, v18, v24
	ds_write2_b64 v18, v[39:40], v[37:38] offset1:28
	v_sub_f32_e32 v37, v49, v63
	v_sub_f32_e32 v38, v50, v64
	v_fma_f32 v39, v49, 2.0, -v37
	v_fma_f32 v40, v50, 2.0, -v38
	s_movk_i32 s0, 0x1c0
	ds_write2_b64 v29, v[39:40], v[37:38] offset0:60 offset1:88
	v_sub_f32_e32 v37, v41, v65
	v_sub_f32_e32 v38, v42, v66
	v_mad_u32_u24 v18, v25, s0, 0
	v_fma_f32 v39, v41, 2.0, -v37
	v_fma_f32 v40, v42, 2.0, -v38
	v_add3_u32 v18, v18, v55, v24
	ds_write2_b64 v18, v[39:40], v[37:38] offset1:28
	v_sub_f32_e32 v37, v43, v67
	v_sub_f32_e32 v38, v44, v68
	v_fma_f32 v39, v43, 2.0, -v37
	v_fma_f32 v40, v44, 2.0, -v38
	v_add_u32_e32 v18, v28, v56
	ds_write2_b64 v18, v[39:40], v[37:38] offset0:112 offset1:140
	v_sub_f32_e32 v37, v45, v69
	v_sub_f32_e32 v38, v46, v70
	v_mad_u32_u24 v18, v57, s0, 0
	v_fma_f32 v39, v45, 2.0, -v37
	v_fma_f32 v40, v46, 2.0, -v38
	v_add3_u32 v18, v18, v58, v24
	ds_write2_b64 v18, v[39:40], v[37:38] offset1:28
	s_waitcnt vmcnt(0)
	v_mul_f32_e32 v18, v54, v23
	v_mul_f32_e32 v23, v53, v23
	v_fma_f32 v18, v53, v22, -v18
	v_fmac_f32_e32 v23, v54, v22
	v_sub_f32_e32 v22, v47, v18
	v_sub_f32_e32 v23, v48, v23
	v_fma_f32 v37, v47, 2.0, -v22
	v_fma_f32 v38, v48, 2.0, -v23
	ds_write2_b64 v1, v[37:38], v[22:23] offset0:168 offset1:196
	s_waitcnt lgkmcnt(0)
	; wave barrier
	s_waitcnt lgkmcnt(0)
	global_load_dwordx2 v[41:42], v[20:21], off offset:392
	v_lshlrev_b64 v[22:23], 3, v[4:5]
	v_add_u32_e32 v1, -8, v0
	v_add_co_u32_e64 v22, s[0:1], s8, v22
	v_addc_co_u32_e64 v23, s[0:1], v36, v23, s[0:1]
	v_add_co_u32_e64 v14, s[0:1], s8, v14
	v_addc_co_u32_e64 v15, s[0:1], v36, v15, s[0:1]
	global_load_dwordx2 v[45:46], v[22:23], off offset:392
	global_load_dwordx2 v[47:48], v[14:15], off offset:392
	v_cmp_gt_u32_e64 s[0:1], 56, v8
	v_cndmask_b32_e64 v18, v1, v8, s[0:1]
	v_lshlrev_b64 v[37:38], 3, v[18:19]
	v_add_co_u32_e64 v37, s[0:1], s8, v37
	v_addc_co_u32_e64 v38, s[0:1], v36, v38, s[0:1]
	global_load_dwordx2 v[49:50], v[37:38], off offset:392
	global_load_dwordx2 v[51:52], v[20:21], off offset:456
	global_load_dwordx2 v[53:54], v[20:21], off offset:584
	global_load_dwordx2 v[55:56], v[20:21], off offset:712
	ds_read2_b64 v[37:40], v29 offset0:112 offset1:128
	v_cmp_lt_u32_e64 s[0:1], 55, v8
	v_lshlrev_b64 v[8:9], 3, v[8:9]
	s_waitcnt vmcnt(6) lgkmcnt(0)
	v_mul_f32_e32 v1, v42, v38
	v_mul_f32_e32 v5, v42, v37
	v_fma_f32 v1, v41, v37, -v1
	v_fmac_f32_e32 v5, v41, v38
	ds_read2_b64 v[41:44], v29 offset0:144 offset1:160
	s_waitcnt vmcnt(5)
	v_mul_f32_e32 v19, v46, v40
	v_mul_f32_e32 v25, v46, v39
	s_waitcnt vmcnt(4) lgkmcnt(0)
	v_mul_f32_e32 v37, v48, v42
	v_fma_f32 v19, v45, v39, -v19
	v_fmac_f32_e32 v25, v45, v40
	v_fma_f32 v57, v47, v41, -v37
	ds_read2_b64 v[37:40], v29 offset0:176 offset1:192
	v_mul_f32_e32 v58, v48, v41
	s_waitcnt vmcnt(3)
	v_mul_f32_e32 v41, v50, v44
	v_fma_f32 v59, v49, v43, -v41
	v_mul_f32_e32 v60, v50, v43
	s_waitcnt vmcnt(2) lgkmcnt(0)
	v_mul_f32_e32 v41, v52, v38
	v_mul_f32_e32 v62, v52, v37
	v_fma_f32 v61, v51, v37, -v41
	v_fmac_f32_e32 v62, v51, v38
	ds_read_b64 v[37:38], v26
	s_waitcnt vmcnt(1)
	v_mul_f32_e32 v41, v40, v54
	v_mul_f32_e32 v64, v39, v54
	v_fmac_f32_e32 v58, v47, v42
	v_fmac_f32_e32 v60, v49, v44
	v_fma_f32 v63, v39, v53, -v41
	v_fmac_f32_e32 v64, v40, v53
	ds_read_b64 v[41:42], v33
	ds_read_b64 v[43:44], v32
	;; [unrolled: 1-line block ×6, first 2 shown]
	ds_read_b64 v[53:54], v29 offset:1664
	s_waitcnt lgkmcnt(7)
	v_sub_f32_e32 v39, v37, v1
	v_sub_f32_e32 v40, v38, v5
	v_fma_f32 v37, v37, 2.0, -v39
	v_fma_f32 v38, v38, 2.0, -v40
	s_waitcnt lgkmcnt(0)
	; wave barrier
	s_waitcnt lgkmcnt(0)
	ds_write2_b64 v29, v[37:38], v[39:40] offset1:56
	v_sub_f32_e32 v37, v51, v19
	v_sub_f32_e32 v38, v52, v25
	v_fma_f32 v39, v51, 2.0, -v37
	v_fma_f32 v40, v52, 2.0, -v38
	ds_write2_b64 v35, v[39:40], v[37:38] offset1:56
	v_sub_f32_e32 v37, v49, v57
	v_sub_f32_e32 v38, v50, v58
	v_mov_b32_e32 v5, 0x380
	v_fma_f32 v39, v49, 2.0, -v37
	v_fma_f32 v40, v50, 2.0, -v38
	v_cndmask_b32_e64 v5, 0, v5, s[0:1]
	ds_write2_b64 v34, v[39:40], v[37:38] offset1:56
	v_sub_f32_e32 v37, v41, v59
	v_sub_f32_e32 v38, v42, v60
	v_lshlrev_b32_e32 v1, 3, v18
	v_add_u32_e32 v5, 0, v5
	v_fma_f32 v39, v41, 2.0, -v37
	v_fma_f32 v40, v42, 2.0, -v38
	v_add3_u32 v1, v5, v1, v24
	ds_write2_b64 v1, v[39:40], v[37:38] offset1:56
	s_waitcnt vmcnt(0)
	v_mul_f32_e32 v1, v54, v56
	v_mul_f32_e32 v5, v53, v56
	v_sub_f32_e32 v18, v43, v61
	v_sub_f32_e32 v19, v44, v62
	v_sub_f32_e32 v37, v45, v63
	v_sub_f32_e32 v38, v46, v64
	v_fma_f32 v1, v53, v55, -v1
	v_fmac_f32_e32 v5, v54, v55
	v_fma_f32 v24, v43, 2.0, -v18
	v_fma_f32 v25, v44, 2.0, -v19
	;; [unrolled: 1-line block ×4, first 2 shown]
	ds_write2_b64 v29, v[24:25], v[39:40] offset0:120 offset1:136
	v_sub_f32_e32 v24, v47, v1
	v_sub_f32_e32 v25, v48, v5
	v_fma_f32 v39, v47, 2.0, -v24
	v_fma_f32 v40, v48, 2.0, -v25
	ds_write2_b64 v29, v[39:40], v[18:19] offset0:152 offset1:176
	ds_write2_b64 v29, v[37:38], v[24:25] offset0:192 offset1:208
	s_waitcnt lgkmcnt(0)
	; wave barrier
	s_waitcnt lgkmcnt(0)
	global_load_dwordx2 v[37:38], v[20:21], off offset:840
	global_load_dwordx2 v[40:41], v[22:23], off offset:840
	;; [unrolled: 1-line block ×3, first 2 shown]
	v_add_co_u32_e64 v24, s[0:1], s8, v8
	v_lshlrev_b64 v[5:6], 3, v[6:7]
	v_addc_co_u32_e64 v25, s[0:1], v36, v9, s[0:1]
	v_add_co_u32_e64 v18, s[0:1], s8, v5
	global_load_dwordx2 v[44:45], v[24:25], off offset:840
	v_addc_co_u32_e64 v19, s[0:1], v36, v6, s[0:1]
	global_load_dwordx2 v[46:47], v[18:19], off offset:840
	v_lshlrev_b64 v[5:6], 3, v[12:13]
	v_add_co_u32_e64 v7, s[0:1], s8, v5
	v_addc_co_u32_e64 v8, s[0:1], v36, v6, s[0:1]
	global_load_dwordx2 v[48:49], v[7:8], off offset:840
	v_lshlrev_b64 v[5:6], 3, v[10:11]
	ds_read2_b64 v[9:12], v29 offset0:112 offset1:128
	v_add_co_u32_e64 v5, s[0:1], s8, v5
	v_addc_co_u32_e64 v6, s[0:1], v36, v6, s[0:1]
	global_load_dwordx2 v[50:51], v[5:6], off offset:840
	v_cmp_ne_u32_e64 s[0:1], 0, v0
	s_waitcnt vmcnt(6) lgkmcnt(0)
	v_mul_f32_e32 v1, v38, v10
	v_mul_f32_e32 v13, v38, v9
	v_fma_f32 v1, v37, v9, -v1
	v_fmac_f32_e32 v13, v37, v10
	ds_read2_b64 v[36:39], v29 offset0:144 offset1:160
	s_waitcnt vmcnt(5)
	v_mul_f32_e32 v9, v41, v12
	v_fma_f32 v52, v40, v11, -v9
	v_mul_f32_e32 v53, v41, v11
	v_fmac_f32_e32 v53, v40, v12
	s_waitcnt vmcnt(4) lgkmcnt(0)
	v_mul_f32_e32 v9, v43, v37
	v_fma_f32 v54, v42, v36, -v9
	ds_read2_b64 v[9:12], v29 offset0:176 offset1:192
	v_mul_f32_e32 v55, v43, v36
	s_waitcnt vmcnt(3)
	v_mul_f32_e32 v36, v45, v39
	v_fma_f32 v56, v44, v38, -v36
	v_mul_f32_e32 v57, v45, v38
	s_waitcnt vmcnt(2) lgkmcnt(0)
	v_mul_f32_e32 v36, v47, v10
	v_mul_f32_e32 v59, v47, v9
	v_fma_f32 v58, v46, v9, -v36
	v_fmac_f32_e32 v59, v46, v10
	ds_read_b64 v[9:10], v26
	s_waitcnt vmcnt(1)
	v_mul_f32_e32 v36, v12, v49
	v_mul_f32_e32 v61, v11, v49
	v_fmac_f32_e32 v55, v42, v37
	v_fmac_f32_e32 v57, v44, v39
	v_fma_f32 v60, v11, v48, -v36
	v_fmac_f32_e32 v61, v12, v48
	ds_read_b64 v[36:37], v33
	ds_read_b64 v[38:39], v32
	;; [unrolled: 1-line block ×6, first 2 shown]
	ds_read_b64 v[48:49], v29 offset:1664
	s_waitcnt lgkmcnt(7)
	v_sub_f32_e32 v11, v9, v1
	v_sub_f32_e32 v12, v10, v13
	v_fma_f32 v9, v9, 2.0, -v11
	v_fma_f32 v10, v10, 2.0, -v12
	s_waitcnt lgkmcnt(0)
	; wave barrier
	s_waitcnt lgkmcnt(0)
	ds_write2_b64 v29, v[9:10], v[11:12] offset1:112
	v_sub_f32_e32 v9, v46, v52
	v_sub_f32_e32 v10, v47, v53
	v_fma_f32 v11, v46, 2.0, -v9
	v_fma_f32 v12, v47, 2.0, -v10
	ds_write2_b64 v35, v[11:12], v[9:10] offset1:112
	v_sub_f32_e32 v9, v44, v54
	v_sub_f32_e32 v10, v45, v55
	v_fma_f32 v11, v44, 2.0, -v9
	v_fma_f32 v12, v45, 2.0, -v10
	;; [unrolled: 5-line block ×4, first 2 shown]
	s_waitcnt vmcnt(0)
	v_mul_f32_e32 v1, v49, v51
	v_mul_f32_e32 v13, v48, v51
	ds_write2_b64 v32, v[11:12], v[9:10] offset1:112
	v_sub_f32_e32 v9, v40, v60
	v_sub_f32_e32 v10, v41, v61
	v_fma_f32 v1, v48, v50, -v1
	v_fmac_f32_e32 v13, v49, v50
	v_fma_f32 v11, v40, 2.0, -v9
	v_fma_f32 v12, v41, 2.0, -v10
	ds_write2_b64 v31, v[11:12], v[9:10] offset1:112
	v_sub_f32_e32 v9, v42, v1
	v_sub_f32_e32 v10, v43, v13
	v_fma_f32 v11, v42, 2.0, -v9
	v_fma_f32 v12, v43, 2.0, -v10
	ds_write2_b64 v30, v[11:12], v[9:10] offset1:112
	s_waitcnt lgkmcnt(0)
	; wave barrier
	s_waitcnt lgkmcnt(0)
	ds_read_b64 v[11:12], v26
	v_sub_u32_e32 v1, v28, v27
                                        ; implicit-def: $vgpr13
                                        ; implicit-def: $vgpr27
                                        ; implicit-def: $vgpr9
	s_and_saveexec_b64 s[4:5], s[0:1]
	s_xor_b64 s[0:1], exec, s[4:5]
	s_cbranch_execz .LBB0_15
; %bb.14:
	global_load_dwordx2 v[20:21], v[20:21], off offset:1736
	ds_read_b64 v[9:10], v1 offset:1792
	s_waitcnt lgkmcnt(0)
	v_add_f32_e32 v29, v9, v11
	v_sub_f32_e32 v9, v11, v9
	v_add_f32_e32 v13, v10, v12
	v_sub_f32_e32 v10, v12, v10
	v_mul_f32_e32 v12, 0.5, v9
	v_mul_f32_e32 v11, 0.5, v13
	;; [unrolled: 1-line block ×3, first 2 shown]
	s_waitcnt vmcnt(0)
	v_mul_f32_e32 v10, v21, v12
	v_fma_f32 v27, v11, v21, v9
	v_fma_f32 v21, v11, v21, -v9
	v_fma_f32 v13, 0.5, v29, v10
	v_fma_f32 v9, v29, 0.5, -v10
	v_fma_f32 v27, -v20, v12, v27
	v_fmac_f32_e32 v13, v20, v11
	v_fma_f32 v9, -v20, v11, v9
	v_fma_f32 v10, -v20, v12, v21
                                        ; implicit-def: $vgpr11_vgpr12
.LBB0_15:
	s_andn2_saveexec_b64 s[0:1], s[0:1]
	s_cbranch_execz .LBB0_17
; %bb.16:
	ds_read_b32 v10, v28 offset:900
	s_waitcnt lgkmcnt(1)
	v_add_f32_e32 v13, v11, v12
	v_sub_f32_e32 v9, v11, v12
	v_mov_b32_e32 v27, 0
	s_waitcnt lgkmcnt(0)
	v_xor_b32_e32 v10, 0x80000000, v10
	ds_write_b32 v28, v10 offset:900
	v_mov_b32_e32 v10, 0
.LBB0_17:
	s_or_b64 exec, exec, s[0:1]
	s_waitcnt lgkmcnt(0)
	global_load_dwordx2 v[11:12], v[22:23], off offset:1736
	global_load_dwordx2 v[20:21], v[14:15], off offset:1736
	;; [unrolled: 1-line block ×3, first 2 shown]
	ds_write2_b32 v26, v13, v27 offset1:1
	ds_write_b64 v1, v[9:10] offset:1792
	v_lshl_add_u32 v4, v4, 3, v28
	ds_read_b64 v[9:10], v4
	ds_read_b64 v[13:14], v1 offset:1664
	global_load_dwordx2 v[18:19], v[18:19], off offset:1736
	s_waitcnt lgkmcnt(0)
	v_add_f32_e32 v15, v9, v13
	v_sub_f32_e32 v9, v9, v13
	v_add_f32_e32 v22, v10, v14
	v_sub_f32_e32 v10, v10, v14
	v_mul_f32_e32 v9, 0.5, v9
	v_mul_f32_e32 v13, 0.5, v22
	;; [unrolled: 1-line block ×3, first 2 shown]
	s_waitcnt vmcnt(3)
	v_mul_f32_e32 v14, v12, v9
	v_fma_f32 v22, v13, v12, v10
	v_fma_f32 v10, v13, v12, -v10
	v_fma_f32 v12, 0.5, v15, v14
	v_fma_f32 v22, -v11, v9, v22
	v_fma_f32 v14, v15, 0.5, -v14
	v_fmac_f32_e32 v12, v11, v13
	v_fma_f32 v10, -v11, v9, v10
	v_fma_f32 v9, -v11, v13, v14
	ds_write2_b32 v4, v12, v22 offset1:1
	ds_write_b64 v1, v[9:10] offset:1664
	ds_read_b64 v[9:10], v34
	ds_read_b64 v[11:12], v1 offset:1536
	global_load_dwordx2 v[7:8], v[7:8], off offset:1736
	s_waitcnt lgkmcnt(0)
	v_add_f32_e32 v4, v9, v11
	v_sub_f32_e32 v9, v9, v11
	v_add_f32_e32 v13, v10, v12
	v_sub_f32_e32 v10, v10, v12
	v_mul_f32_e32 v9, 0.5, v9
	v_mul_f32_e32 v11, 0.5, v13
	v_mul_f32_e32 v10, 0.5, v10
	s_waitcnt vmcnt(3)
	v_mul_f32_e32 v12, v21, v9
	v_fma_f32 v13, v11, v21, v10
	v_fma_f32 v14, 0.5, v4, v12
	v_fma_f32 v10, v11, v21, -v10
	v_fma_f32 v13, -v20, v9, v13
	v_fma_f32 v4, v4, 0.5, -v12
	v_fmac_f32_e32 v14, v20, v11
	v_fma_f32 v10, -v20, v9, v10
	v_fma_f32 v9, -v20, v11, v4
	ds_write2_b32 v34, v14, v13 offset1:1
	ds_write_b64 v1, v[9:10] offset:1536
	ds_read_b64 v[9:10], v33
	ds_read_b64 v[11:12], v1 offset:1408
	global_load_dwordx2 v[4:5], v[5:6], off offset:1736
	s_waitcnt lgkmcnt(0)
	v_add_f32_e32 v6, v9, v11
	v_sub_f32_e32 v9, v9, v11
	v_add_f32_e32 v13, v10, v12
	v_sub_f32_e32 v10, v10, v12
	v_mul_f32_e32 v9, 0.5, v9
	v_mul_f32_e32 v11, 0.5, v13
	;; [unrolled: 1-line block ×3, first 2 shown]
	s_waitcnt vmcnt(3)
	v_mul_f32_e32 v12, v36, v9
	v_fma_f32 v13, v11, v36, v10
	v_fma_f32 v14, 0.5, v6, v12
	v_fma_f32 v10, v11, v36, -v10
	v_fma_f32 v13, -v35, v9, v13
	v_fma_f32 v6, v6, 0.5, -v12
	v_fmac_f32_e32 v14, v35, v11
	v_fma_f32 v10, -v35, v9, v10
	v_fma_f32 v9, -v35, v11, v6
	ds_write2_b32 v33, v14, v13 offset1:1
	ds_write_b64 v1, v[9:10] offset:1408
	ds_read_b64 v[9:10], v32
	ds_read_b64 v[11:12], v1 offset:1280
	s_waitcnt lgkmcnt(0)
	v_add_f32_e32 v6, v9, v11
	v_sub_f32_e32 v9, v9, v11
	v_add_f32_e32 v13, v10, v12
	v_sub_f32_e32 v10, v10, v12
	v_mul_f32_e32 v9, 0.5, v9
	v_mul_f32_e32 v11, 0.5, v13
	;; [unrolled: 1-line block ×3, first 2 shown]
	s_waitcnt vmcnt(2)
	v_mul_f32_e32 v12, v19, v9
	v_fma_f32 v13, v11, v19, v10
	v_fma_f32 v14, 0.5, v6, v12
	v_fma_f32 v10, v11, v19, -v10
	v_fma_f32 v13, -v18, v9, v13
	v_fma_f32 v6, v6, 0.5, -v12
	v_fmac_f32_e32 v14, v18, v11
	v_fma_f32 v10, -v18, v9, v10
	v_fma_f32 v9, -v18, v11, v6
	ds_write2_b32 v32, v14, v13 offset1:1
	ds_write_b64 v1, v[9:10] offset:1280
	ds_read_b64 v[9:10], v31
	ds_read_b64 v[11:12], v1 offset:1152
	s_waitcnt lgkmcnt(0)
	v_add_f32_e32 v6, v9, v11
	v_sub_f32_e32 v9, v9, v11
	v_add_f32_e32 v13, v10, v12
	v_sub_f32_e32 v10, v10, v12
	v_mul_f32_e32 v9, 0.5, v9
	v_mul_f32_e32 v11, 0.5, v13
	;; [unrolled: 1-line block ×3, first 2 shown]
	s_waitcnt vmcnt(1)
	v_mul_f32_e32 v12, v8, v9
	v_fma_f32 v13, v11, v8, v10
	v_fma_f32 v8, v11, v8, -v10
	v_fma_f32 v10, 0.5, v6, v12
	v_fma_f32 v13, -v7, v9, v13
	v_fma_f32 v6, v6, 0.5, -v12
	v_fmac_f32_e32 v10, v7, v11
	v_fma_f32 v8, -v7, v9, v8
	v_fma_f32 v7, -v7, v11, v6
	ds_write2_b32 v31, v10, v13 offset1:1
	ds_write_b64 v1, v[7:8] offset:1152
	ds_read_b64 v[6:7], v30
	ds_read_b64 v[8:9], v1 offset:1024
	s_waitcnt lgkmcnt(0)
	v_add_f32_e32 v10, v6, v8
	v_sub_f32_e32 v6, v6, v8
	v_add_f32_e32 v11, v7, v9
	v_sub_f32_e32 v7, v7, v9
	v_mul_f32_e32 v6, 0.5, v6
	v_mul_f32_e32 v8, 0.5, v11
	;; [unrolled: 1-line block ×3, first 2 shown]
	s_waitcnt vmcnt(0)
	v_mul_f32_e32 v9, v5, v6
	v_fma_f32 v11, v8, v5, v7
	v_fma_f32 v5, v8, v5, -v7
	v_fma_f32 v7, 0.5, v10, v9
	v_fma_f32 v11, -v4, v6, v11
	v_fma_f32 v9, v10, 0.5, -v9
	v_fmac_f32_e32 v7, v4, v8
	v_fma_f32 v5, -v4, v6, v5
	v_fma_f32 v4, -v4, v8, v9
	ds_write2_b32 v30, v7, v11 offset1:1
	ds_write_b64 v1, v[4:5] offset:1024
	s_waitcnt lgkmcnt(0)
	; wave barrier
	s_waitcnt lgkmcnt(0)
	s_and_saveexec_b64 s[0:1], vcc
	s_cbranch_execz .LBB0_20
; %bb.18:
	ds_read2_b64 v[4:7], v26 offset1:16
	v_mov_b32_e32 v8, s3
	v_add_co_u32_e32 v1, vcc, s2, v2
	v_addc_co_u32_e32 v2, vcc, v8, v3, vcc
	ds_read2_b64 v[8:11], v26 offset0:32 offset1:48
	ds_read2_b64 v[12:15], v26 offset0:64 offset1:80
	v_add_co_u32_e32 v16, vcc, v1, v16
	v_addc_co_u32_e32 v17, vcc, v2, v17, vcc
	s_waitcnt lgkmcnt(2)
	global_store_dwordx2 v[16:17], v[4:5], off
	global_store_dwordx2 v[16:17], v[6:7], off offset:128
	s_waitcnt lgkmcnt(1)
	global_store_dwordx2 v[16:17], v[8:9], off offset:256
	ds_read2_b64 v[3:6], v26 offset0:96 offset1:112
	global_store_dwordx2 v[16:17], v[10:11], off offset:384
	s_waitcnt lgkmcnt(1)
	global_store_dwordx2 v[16:17], v[12:13], off offset:512
	global_store_dwordx2 v[16:17], v[14:15], off offset:640
	ds_read2_b64 v[7:10], v26 offset0:128 offset1:144
	ds_read2_b64 v[11:14], v26 offset0:160 offset1:176
	v_cmp_eq_u32_e32 vcc, 15, v0
	s_waitcnt lgkmcnt(2)
	global_store_dwordx2 v[16:17], v[3:4], off offset:768
	global_store_dwordx2 v[16:17], v[5:6], off offset:896
	ds_read2_b64 v[3:6], v26 offset0:192 offset1:208
	s_waitcnt lgkmcnt(2)
	global_store_dwordx2 v[16:17], v[7:8], off offset:1024
	global_store_dwordx2 v[16:17], v[9:10], off offset:1152
	s_waitcnt lgkmcnt(1)
	global_store_dwordx2 v[16:17], v[11:12], off offset:1280
	global_store_dwordx2 v[16:17], v[13:14], off offset:1408
	;; [unrolled: 3-line block ×3, first 2 shown]
	s_and_b64 exec, exec, vcc
	s_cbranch_execz .LBB0_20
; %bb.19:
	ds_read_b64 v[3:4], v26 offset:1672
	s_waitcnt lgkmcnt(0)
	global_store_dwordx2 v[1:2], v[3:4], off offset:1792
.LBB0_20:
	s_endpgm
	.section	.rodata,"a",@progbits
	.p2align	6, 0x0
	.amdhsa_kernel fft_rtc_fwd_len224_factors_7_2_2_2_2_2_wgs_64_tpt_16_halfLds_sp_ip_CI_unitstride_sbrr_R2C_dirReg
		.amdhsa_group_segment_fixed_size 0
		.amdhsa_private_segment_fixed_size 0
		.amdhsa_kernarg_size 88
		.amdhsa_user_sgpr_count 6
		.amdhsa_user_sgpr_private_segment_buffer 1
		.amdhsa_user_sgpr_dispatch_ptr 0
		.amdhsa_user_sgpr_queue_ptr 0
		.amdhsa_user_sgpr_kernarg_segment_ptr 1
		.amdhsa_user_sgpr_dispatch_id 0
		.amdhsa_user_sgpr_flat_scratch_init 0
		.amdhsa_user_sgpr_private_segment_size 0
		.amdhsa_uses_dynamic_stack 0
		.amdhsa_system_sgpr_private_segment_wavefront_offset 0
		.amdhsa_system_sgpr_workgroup_id_x 1
		.amdhsa_system_sgpr_workgroup_id_y 0
		.amdhsa_system_sgpr_workgroup_id_z 0
		.amdhsa_system_sgpr_workgroup_info 0
		.amdhsa_system_vgpr_workitem_id 0
		.amdhsa_next_free_vgpr 75
		.amdhsa_next_free_sgpr 22
		.amdhsa_reserve_vcc 1
		.amdhsa_reserve_flat_scratch 0
		.amdhsa_float_round_mode_32 0
		.amdhsa_float_round_mode_16_64 0
		.amdhsa_float_denorm_mode_32 3
		.amdhsa_float_denorm_mode_16_64 3
		.amdhsa_dx10_clamp 1
		.amdhsa_ieee_mode 1
		.amdhsa_fp16_overflow 0
		.amdhsa_exception_fp_ieee_invalid_op 0
		.amdhsa_exception_fp_denorm_src 0
		.amdhsa_exception_fp_ieee_div_zero 0
		.amdhsa_exception_fp_ieee_overflow 0
		.amdhsa_exception_fp_ieee_underflow 0
		.amdhsa_exception_fp_ieee_inexact 0
		.amdhsa_exception_int_div_zero 0
	.end_amdhsa_kernel
	.text
.Lfunc_end0:
	.size	fft_rtc_fwd_len224_factors_7_2_2_2_2_2_wgs_64_tpt_16_halfLds_sp_ip_CI_unitstride_sbrr_R2C_dirReg, .Lfunc_end0-fft_rtc_fwd_len224_factors_7_2_2_2_2_2_wgs_64_tpt_16_halfLds_sp_ip_CI_unitstride_sbrr_R2C_dirReg
                                        ; -- End function
	.section	.AMDGPU.csdata,"",@progbits
; Kernel info:
; codeLenInByte = 8200
; NumSgprs: 26
; NumVgprs: 75
; ScratchSize: 0
; MemoryBound: 0
; FloatMode: 240
; IeeeMode: 1
; LDSByteSize: 0 bytes/workgroup (compile time only)
; SGPRBlocks: 3
; VGPRBlocks: 18
; NumSGPRsForWavesPerEU: 26
; NumVGPRsForWavesPerEU: 75
; Occupancy: 3
; WaveLimiterHint : 1
; COMPUTE_PGM_RSRC2:SCRATCH_EN: 0
; COMPUTE_PGM_RSRC2:USER_SGPR: 6
; COMPUTE_PGM_RSRC2:TRAP_HANDLER: 0
; COMPUTE_PGM_RSRC2:TGID_X_EN: 1
; COMPUTE_PGM_RSRC2:TGID_Y_EN: 0
; COMPUTE_PGM_RSRC2:TGID_Z_EN: 0
; COMPUTE_PGM_RSRC2:TIDIG_COMP_CNT: 0
	.type	__hip_cuid_ca2e6188742ff57f,@object ; @__hip_cuid_ca2e6188742ff57f
	.section	.bss,"aw",@nobits
	.globl	__hip_cuid_ca2e6188742ff57f
__hip_cuid_ca2e6188742ff57f:
	.byte	0                               ; 0x0
	.size	__hip_cuid_ca2e6188742ff57f, 1

	.ident	"AMD clang version 19.0.0git (https://github.com/RadeonOpenCompute/llvm-project roc-6.4.0 25133 c7fe45cf4b819c5991fe208aaa96edf142730f1d)"
	.section	".note.GNU-stack","",@progbits
	.addrsig
	.addrsig_sym __hip_cuid_ca2e6188742ff57f
	.amdgpu_metadata
---
amdhsa.kernels:
  - .args:
      - .actual_access:  read_only
        .address_space:  global
        .offset:         0
        .size:           8
        .value_kind:     global_buffer
      - .offset:         8
        .size:           8
        .value_kind:     by_value
      - .actual_access:  read_only
        .address_space:  global
        .offset:         16
        .size:           8
        .value_kind:     global_buffer
      - .actual_access:  read_only
        .address_space:  global
        .offset:         24
        .size:           8
        .value_kind:     global_buffer
      - .offset:         32
        .size:           8
        .value_kind:     by_value
      - .actual_access:  read_only
        .address_space:  global
        .offset:         40
        .size:           8
        .value_kind:     global_buffer
      - .actual_access:  read_only
        .address_space:  global
        .offset:         48
        .size:           8
        .value_kind:     global_buffer
      - .offset:         56
        .size:           4
        .value_kind:     by_value
      - .actual_access:  read_only
        .address_space:  global
        .offset:         64
        .size:           8
        .value_kind:     global_buffer
      - .actual_access:  read_only
        .address_space:  global
        .offset:         72
        .size:           8
        .value_kind:     global_buffer
      - .address_space:  global
        .offset:         80
        .size:           8
        .value_kind:     global_buffer
    .group_segment_fixed_size: 0
    .kernarg_segment_align: 8
    .kernarg_segment_size: 88
    .language:       OpenCL C
    .language_version:
      - 2
      - 0
    .max_flat_workgroup_size: 64
    .name:           fft_rtc_fwd_len224_factors_7_2_2_2_2_2_wgs_64_tpt_16_halfLds_sp_ip_CI_unitstride_sbrr_R2C_dirReg
    .private_segment_fixed_size: 0
    .sgpr_count:     26
    .sgpr_spill_count: 0
    .symbol:         fft_rtc_fwd_len224_factors_7_2_2_2_2_2_wgs_64_tpt_16_halfLds_sp_ip_CI_unitstride_sbrr_R2C_dirReg.kd
    .uniform_work_group_size: 1
    .uses_dynamic_stack: false
    .vgpr_count:     75
    .vgpr_spill_count: 0
    .wavefront_size: 64
amdhsa.target:   amdgcn-amd-amdhsa--gfx906
amdhsa.version:
  - 1
  - 2
...

	.end_amdgpu_metadata
